;; amdgpu-corpus repo=llvm/llvm-project kind=harvested arch=n/a opt=n/a
// NOTE: Assertions have been autogenerated by utils/update_mc_test_checks.py UTC_ARGS: --unique --sort --version 6
// RUN: llvm-mc -triple=amdgcn -show-encoding %s | FileCheck -check-prefix=SI %s
// RUN: llvm-mc -triple=amdgcn -mcpu=tonga -show-encoding %s | FileCheck -check-prefix=GFX89 %s
// RUN: llvm-mc -triple=amdgcn -mcpu=gfx900 -show-encoding %s | FileCheck -check-prefix=GFX89 %s
// RUN: llvm-mc -triple=amdgcn -mcpu=gfx1010 -show-encoding %s | FileCheck -check-prefix=GFX10 %s
// RUN: llvm-mc -triple=amdgcn -mcpu=gfx1100 -show-encoding %s | FileCheck -check-prefix=GFX10 %s
// RUN: llvm-mc -triple=amdgcn -mcpu=gfx1200 -show-encoding %s | FileCheck -check-prefix=GFX12 %s
// RUN: llvm-mc -triple=amdgcn -mcpu=gfx1310 -show-encoding %s | FileCheck -check-prefix=GFX12 %s

// Check format without comma between target export and first data
exp mrt0 off, off, off, off
// GFX10: exp mrt0, off, off, off, off            ; encoding: [0x00,0x00,0x00,0xf8,0x00,0x00,0x00,0x00]
// GFX12: export mrt0, off, off, off, off         ; encoding: [0x00,0x00,0x00,0xf8,0x00,0x00,0x00,0x00]
// GFX89: exp mrt0, off, off, off, off            ; encoding: [0x00,0x00,0x00,0xc4,0x00,0x00,0x00,0x00]
// SI: exp mrt0, off, off, off, off            ; encoding: [0x00,0x00,0x00,0xf8,0x00,0x00,0x00,0x00]

exp mrt0 off, off, off, off done
// GFX10: exp mrt0, off, off, off, off done       ; encoding: [0x00,0x08,0x00,0xf8,0x00,0x00,0x00,0x00]
// GFX12: export mrt0, off, off, off, off done    ; encoding: [0x00,0x08,0x00,0xf8,0x00,0x00,0x00,0x00]
// GFX89: exp mrt0, off, off, off, off done       ; encoding: [0x00,0x08,0x00,0xc4,0x00,0x00,0x00,0x00]
// SI: exp mrt0, off, off, off, off done       ; encoding: [0x00,0x08,0x00,0xf8,0x00,0x00,0x00,0x00]

exp mrt0 off, off, off, v1 done
// GFX10: exp mrt0, off, off, off, v1 done        ; encoding: [0x08,0x08,0x00,0xf8,0x00,0x00,0x00,0x01]
// GFX12: export mrt0, off, off, off, v1 done     ; encoding: [0x08,0x08,0x00,0xf8,0x00,0x00,0x00,0x01]
// GFX89: exp mrt0, off, off, off, v1 done        ; encoding: [0x08,0x08,0x00,0xc4,0x00,0x00,0x00,0x01]
// SI: exp mrt0, off, off, off, v1 done        ; encoding: [0x08,0x08,0x00,0xf8,0x00,0x00,0x00,0x01]

exp mrt0 off, off, v2, off done
// GFX10: exp mrt0, off, off, v2, off done        ; encoding: [0x04,0x08,0x00,0xf8,0x00,0x00,0x02,0x00]
// GFX12: export mrt0, off, off, v2, off done     ; encoding: [0x04,0x08,0x00,0xf8,0x00,0x00,0x02,0x00]
// GFX89: exp mrt0, off, off, v2, off done        ; encoding: [0x04,0x08,0x00,0xc4,0x00,0x00,0x02,0x00]
// SI: exp mrt0, off, off, v2, off done        ; encoding: [0x04,0x08,0x00,0xf8,0x00,0x00,0x02,0x00]

exp mrt0 off, v3, off, off done
// GFX10: exp mrt0, off, v3, off, off done        ; encoding: [0x02,0x08,0x00,0xf8,0x00,0x03,0x00,0x00]
// GFX12: export mrt0, off, v3, off, off done     ; encoding: [0x02,0x08,0x00,0xf8,0x00,0x03,0x00,0x00]
// GFX89: exp mrt0, off, v3, off, off done        ; encoding: [0x02,0x08,0x00,0xc4,0x00,0x03,0x00,0x00]
// SI: exp mrt0, off, v3, off, off done        ; encoding: [0x02,0x08,0x00,0xf8,0x00,0x03,0x00,0x00]

exp mrt0 v4, off, off, off done
// GFX10: exp mrt0, v4, off, off, off done        ; encoding: [0x01,0x08,0x00,0xf8,0x04,0x00,0x00,0x00]
// GFX12: export mrt0, v4, off, off, off done     ; encoding: [0x01,0x08,0x00,0xf8,0x04,0x00,0x00,0x00]
// GFX89: exp mrt0, v4, off, off, off done        ; encoding: [0x01,0x08,0x00,0xc4,0x04,0x00,0x00,0x00]
// SI: exp mrt0, v4, off, off, off done        ; encoding: [0x01,0x08,0x00,0xf8,0x04,0x00,0x00,0x00]

exp mrt0 v4, off, off, v1
// GFX10: exp mrt0, v4, off, off, v1              ; encoding: [0x09,0x00,0x00,0xf8,0x04,0x00,0x00,0x01]
// GFX12: export mrt0, v4, off, off, v1           ; encoding: [0x09,0x00,0x00,0xf8,0x04,0x00,0x00,0x01]
// GFX89: exp mrt0, v4, off, off, v1              ; encoding: [0x09,0x00,0x00,0xc4,0x04,0x00,0x00,0x01]
// SI: exp mrt0, v4, off, off, v1              ; encoding: [0x09,0x00,0x00,0xf8,0x04,0x00,0x00,0x01]

exp mrt0 v4, off, off, v1 done
// GFX10: exp mrt0, v4, off, off, v1 done         ; encoding: [0x09,0x08,0x00,0xf8,0x04,0x00,0x00,0x01]
// GFX12: export mrt0, v4, off, off, v1 done      ; encoding: [0x09,0x08,0x00,0xf8,0x04,0x00,0x00,0x01]
// GFX89: exp mrt0, v4, off, off, v1 done         ; encoding: [0x09,0x08,0x00,0xc4,0x04,0x00,0x00,0x01]
// SI: exp mrt0, v4, off, off, v1 done         ; encoding: [0x09,0x08,0x00,0xf8,0x04,0x00,0x00,0x01]

exp mrt0 v4, off, v2, off done
// GFX10: exp mrt0, v4, off, v2, off done         ; encoding: [0x05,0x08,0x00,0xf8,0x04,0x00,0x02,0x00]
// GFX12: export mrt0, v4, off, v2, off done      ; encoding: [0x05,0x08,0x00,0xf8,0x04,0x00,0x02,0x00]
// GFX89: exp mrt0, v4, off, v2, off done         ; encoding: [0x05,0x08,0x00,0xc4,0x04,0x00,0x02,0x00]
// SI: exp mrt0, v4, off, v2, off done         ; encoding: [0x05,0x08,0x00,0xf8,0x04,0x00,0x02,0x00]

exp mrt0 v4, v3, off, off done
// GFX10: exp mrt0, v4, v3, off, off done         ; encoding: [0x03,0x08,0x00,0xf8,0x04,0x03,0x00,0x00]
// GFX12: export mrt0, v4, v3, off, off done      ; encoding: [0x03,0x08,0x00,0xf8,0x04,0x03,0x00,0x00]
// GFX89: exp mrt0, v4, v3, off, off done         ; encoding: [0x03,0x08,0x00,0xc4,0x04,0x03,0x00,0x00]
// SI: exp mrt0, v4, v3, off, off done         ; encoding: [0x03,0x08,0x00,0xf8,0x04,0x03,0x00,0x00]

exp mrt0 v4, v3, v2, v1
// GFX10: exp mrt0, v4, v3, v2, v1                ; encoding: [0x0f,0x00,0x00,0xf8,0x04,0x03,0x02,0x01]
// GFX12: export mrt0, v4, v3, v2, v1             ; encoding: [0x0f,0x00,0x00,0xf8,0x04,0x03,0x02,0x01]
// GFX89: exp mrt0, v4, v3, v2, v1                ; encoding: [0x0f,0x00,0x00,0xc4,0x04,0x03,0x02,0x01]
// SI: exp mrt0, v4, v3, v2, v1                ; encoding: [0x0f,0x00,0x00,0xf8,0x04,0x03,0x02,0x01]

exp mrt0 v4, v3, v2, v1 done
// GFX10: exp mrt0, v4, v3, v2, v1 done           ; encoding: [0x0f,0x08,0x00,0xf8,0x04,0x03,0x02,0x01]
// GFX12: export mrt0, v4, v3, v2, v1 done        ; encoding: [0x0f,0x08,0x00,0xf8,0x04,0x03,0x02,0x01]
// GFX89: exp mrt0, v4, v3, v2, v1 done           ; encoding: [0x0f,0x08,0x00,0xc4,0x04,0x03,0x02,0x01]
// SI: exp mrt0, v4, v3, v2, v1 done           ; encoding: [0x0f,0x08,0x00,0xf8,0x04,0x03,0x02,0x01]

// Check format with comma between target export and first data
exp mrt0, off, off, off, off
// GFX10: exp mrt0, off, off, off, off            ; encoding: [0x00,0x00,0x00,0xf8,0x00,0x00,0x00,0x00]
// GFX12: export mrt0, off, off, off, off         ; encoding: [0x00,0x00,0x00,0xf8,0x00,0x00,0x00,0x00]
// GFX89: exp mrt0, off, off, off, off            ; encoding: [0x00,0x00,0x00,0xc4,0x00,0x00,0x00,0x00]
// SI: exp mrt0, off, off, off, off            ; encoding: [0x00,0x00,0x00,0xf8,0x00,0x00,0x00,0x00]

exp mrt7 v1, v1, v1, v1
// GFX10: exp mrt7, v1, v1, v1, v1                ; encoding: [0x7f,0x00,0x00,0xf8,0x01,0x01,0x01,0x01]
// GFX12: export mrt7, v1, v1, v1, v1             ; encoding: [0x7f,0x00,0x00,0xf8,0x01,0x01,0x01,0x01]
// GFX89: exp mrt7, v1, v1, v1, v1                ; encoding: [0x7f,0x00,0x00,0xc4,0x01,0x01,0x01,0x01]
// SI: exp mrt7, v1, v1, v1, v1                ; encoding: [0x7f,0x00,0x00,0xf8,0x01,0x01,0x01,0x01]

exp mrt7 v1, v1, v1, v1 done
// GFX10: exp mrt7, v1, v1, v1, v1 done           ; encoding: [0x7f,0x08,0x00,0xf8,0x01,0x01,0x01,0x01]
// GFX12: export mrt7, v1, v1, v1, v1 done        ; encoding: [0x7f,0x08,0x00,0xf8,0x01,0x01,0x01,0x01]
// GFX89: exp mrt7, v1, v1, v1, v1 done           ; encoding: [0x7f,0x08,0x00,0xc4,0x01,0x01,0x01,0x01]
// SI: exp mrt7, v1, v1, v1, v1 done           ; encoding: [0x7f,0x08,0x00,0xf8,0x01,0x01,0x01,0x01]

exp mrtz v4, v3, v2, v1
// GFX10: exp mrtz, v4, v3, v2, v1                ; encoding: [0x8f,0x00,0x00,0xf8,0x04,0x03,0x02,0x01]
// GFX12: export mrtz, v4, v3, v2, v1             ; encoding: [0x8f,0x00,0x00,0xf8,0x04,0x03,0x02,0x01]
// GFX89: exp mrtz, v4, v3, v2, v1                ; encoding: [0x8f,0x00,0x00,0xc4,0x04,0x03,0x02,0x01]
// SI: exp mrtz, v4, v3, v2, v1                ; encoding: [0x8f,0x00,0x00,0xf8,0x04,0x03,0x02,0x01]

exp mrtz v4, v3, v2, v1 done
// GFX10: exp mrtz, v4, v3, v2, v1 done           ; encoding: [0x8f,0x08,0x00,0xf8,0x04,0x03,0x02,0x01]
// GFX12: export mrtz, v4, v3, v2, v1 done        ; encoding: [0x8f,0x08,0x00,0xf8,0x04,0x03,0x02,0x01]
// GFX89: exp mrtz, v4, v3, v2, v1 done           ; encoding: [0x8f,0x08,0x00,0xc4,0x04,0x03,0x02,0x01]
// SI: exp mrtz, v4, v3, v2, v1 done           ; encoding: [0x8f,0x08,0x00,0xf8,0x04,0x03,0x02,0x01]

exp pos0 v4, v3, v2, v1
// GFX10: exp pos0, v4, v3, v2, v1                ; encoding: [0xcf,0x00,0x00,0xf8,0x04,0x03,0x02,0x01]
// GFX12: export pos0, v4, v3, v2, v1             ; encoding: [0xcf,0x00,0x00,0xf8,0x04,0x03,0x02,0x01]
// GFX89: exp pos0, v4, v3, v2, v1                ; encoding: [0xcf,0x00,0x00,0xc4,0x04,0x03,0x02,0x01]
// SI: exp pos0, v4, v3, v2, v1                ; encoding: [0xcf,0x00,0x00,0xf8,0x04,0x03,0x02,0x01]

exp pos0 v4, v3, v2, v1 done
// GFX10: exp pos0, v4, v3, v2, v1 done           ; encoding: [0xcf,0x08,0x00,0xf8,0x04,0x03,0x02,0x01]
// GFX12: export pos0, v4, v3, v2, v1 done        ; encoding: [0xcf,0x08,0x00,0xf8,0x04,0x03,0x02,0x01]
// GFX89: exp pos0, v4, v3, v2, v1 done           ; encoding: [0xcf,0x08,0x00,0xc4,0x04,0x03,0x02,0x01]
// SI: exp pos0, v4, v3, v2, v1 done           ; encoding: [0xcf,0x08,0x00,0xf8,0x04,0x03,0x02,0x01]

exp pos3 v4, v3, v2, v1
// GFX10: exp pos3, v4, v3, v2, v1                ; encoding: [0xff,0x00,0x00,0xf8,0x04,0x03,0x02,0x01]
// GFX12: export pos3, v4, v3, v2, v1             ; encoding: [0xff,0x00,0x00,0xf8,0x04,0x03,0x02,0x01]
// GFX89: exp pos3, v4, v3, v2, v1                ; encoding: [0xff,0x00,0x00,0xc4,0x04,0x03,0x02,0x01]
// SI: exp pos3, v4, v3, v2, v1                ; encoding: [0xff,0x00,0x00,0xf8,0x04,0x03,0x02,0x01]

exp pos3 v4, v3, v2, v1 done
// GFX10: exp pos3, v4, v3, v2, v1 done           ; encoding: [0xff,0x08,0x00,0xf8,0x04,0x03,0x02,0x01]
// GFX12: export pos3, v4, v3, v2, v1 done        ; encoding: [0xff,0x08,0x00,0xf8,0x04,0x03,0x02,0x01]
// GFX89: exp pos3, v4, v3, v2, v1 done           ; encoding: [0xff,0x08,0x00,0xc4,0x04,0x03,0x02,0x01]
// SI: exp pos3, v4, v3, v2, v1 done           ; encoding: [0xff,0x08,0x00,0xf8,0x04,0x03,0x02,0x01]
